;; amdgpu-corpus repo=ROCm/rocFFT kind=compiled arch=gfx1100 opt=O3
	.text
	.amdgcn_target "amdgcn-amd-amdhsa--gfx1100"
	.amdhsa_code_object_version 6
	.protected	fft_rtc_back_len660_factors_11_6_10_wgs_110_tpt_110_halfLds_half_ip_CI_sbrr_dirReg ; -- Begin function fft_rtc_back_len660_factors_11_6_10_wgs_110_tpt_110_halfLds_half_ip_CI_sbrr_dirReg
	.globl	fft_rtc_back_len660_factors_11_6_10_wgs_110_tpt_110_halfLds_half_ip_CI_sbrr_dirReg
	.p2align	8
	.type	fft_rtc_back_len660_factors_11_6_10_wgs_110_tpt_110_halfLds_half_ip_CI_sbrr_dirReg,@function
fft_rtc_back_len660_factors_11_6_10_wgs_110_tpt_110_halfLds_half_ip_CI_sbrr_dirReg: ; @fft_rtc_back_len660_factors_11_6_10_wgs_110_tpt_110_halfLds_half_ip_CI_sbrr_dirReg
; %bb.0:
	s_clause 0x2
	s_load_b64 s[12:13], s[0:1], 0x18
	s_load_b128 s[4:7], s[0:1], 0x0
	s_load_b64 s[10:11], s[0:1], 0x50
	v_mul_u32_u24_e32 v1, 0x254, v0
	v_mov_b32_e32 v3, 0
	v_mov_b32_e32 v4, 0
	s_delay_alu instid0(VALU_DEP_3) | instskip(SKIP_1) | instid1(VALU_DEP_1)
	v_lshrrev_b32_e32 v2, 16, v1
	v_mov_b32_e32 v1, 0
	v_dual_mov_b32 v6, v1 :: v_dual_add_nc_u32 v5, s15, v2
	s_waitcnt lgkmcnt(0)
	s_load_b64 s[8:9], s[12:13], 0x0
	v_cmp_lt_u64_e64 s2, s[6:7], 2
	s_delay_alu instid0(VALU_DEP_1)
	s_and_b32 vcc_lo, exec_lo, s2
	s_cbranch_vccnz .LBB0_8
; %bb.1:
	s_load_b64 s[2:3], s[0:1], 0x10
	v_mov_b32_e32 v3, 0
	s_add_u32 s14, s12, 8
	v_mov_b32_e32 v4, 0
	s_addc_u32 s15, s13, 0
	s_mov_b64 s[18:19], 1
	s_waitcnt lgkmcnt(0)
	s_add_u32 s16, s2, 8
	s_addc_u32 s17, s3, 0
.LBB0_2:                                ; =>This Inner Loop Header: Depth=1
	s_load_b64 s[20:21], s[16:17], 0x0
                                        ; implicit-def: $vgpr7_vgpr8
	s_mov_b32 s2, exec_lo
	s_waitcnt lgkmcnt(0)
	v_or_b32_e32 v2, s21, v6
	s_delay_alu instid0(VALU_DEP_1)
	v_cmpx_ne_u64_e32 0, v[1:2]
	s_xor_b32 s3, exec_lo, s2
	s_cbranch_execz .LBB0_4
; %bb.3:                                ;   in Loop: Header=BB0_2 Depth=1
	v_cvt_f32_u32_e32 v2, s20
	v_cvt_f32_u32_e32 v7, s21
	s_sub_u32 s2, 0, s20
	s_subb_u32 s22, 0, s21
	s_delay_alu instid0(VALU_DEP_1) | instskip(NEXT) | instid1(VALU_DEP_1)
	v_fmac_f32_e32 v2, 0x4f800000, v7
	v_rcp_f32_e32 v2, v2
	s_waitcnt_depctr 0xfff
	v_mul_f32_e32 v2, 0x5f7ffffc, v2
	s_delay_alu instid0(VALU_DEP_1) | instskip(NEXT) | instid1(VALU_DEP_1)
	v_mul_f32_e32 v7, 0x2f800000, v2
	v_trunc_f32_e32 v7, v7
	s_delay_alu instid0(VALU_DEP_1) | instskip(SKIP_1) | instid1(VALU_DEP_2)
	v_fmac_f32_e32 v2, 0xcf800000, v7
	v_cvt_u32_f32_e32 v7, v7
	v_cvt_u32_f32_e32 v2, v2
	s_delay_alu instid0(VALU_DEP_2) | instskip(NEXT) | instid1(VALU_DEP_2)
	v_mul_lo_u32 v8, s2, v7
	v_mul_hi_u32 v9, s2, v2
	v_mul_lo_u32 v10, s22, v2
	s_delay_alu instid0(VALU_DEP_2) | instskip(SKIP_1) | instid1(VALU_DEP_2)
	v_add_nc_u32_e32 v8, v9, v8
	v_mul_lo_u32 v9, s2, v2
	v_add_nc_u32_e32 v8, v8, v10
	s_delay_alu instid0(VALU_DEP_2) | instskip(NEXT) | instid1(VALU_DEP_2)
	v_mul_hi_u32 v10, v2, v9
	v_mul_lo_u32 v11, v2, v8
	v_mul_hi_u32 v12, v2, v8
	v_mul_hi_u32 v13, v7, v9
	v_mul_lo_u32 v9, v7, v9
	v_mul_hi_u32 v14, v7, v8
	v_mul_lo_u32 v8, v7, v8
	v_add_co_u32 v10, vcc_lo, v10, v11
	v_add_co_ci_u32_e32 v11, vcc_lo, 0, v12, vcc_lo
	s_delay_alu instid0(VALU_DEP_2) | instskip(NEXT) | instid1(VALU_DEP_2)
	v_add_co_u32 v9, vcc_lo, v10, v9
	v_add_co_ci_u32_e32 v9, vcc_lo, v11, v13, vcc_lo
	v_add_co_ci_u32_e32 v10, vcc_lo, 0, v14, vcc_lo
	s_delay_alu instid0(VALU_DEP_2) | instskip(NEXT) | instid1(VALU_DEP_2)
	v_add_co_u32 v8, vcc_lo, v9, v8
	v_add_co_ci_u32_e32 v9, vcc_lo, 0, v10, vcc_lo
	s_delay_alu instid0(VALU_DEP_2) | instskip(NEXT) | instid1(VALU_DEP_2)
	v_add_co_u32 v2, vcc_lo, v2, v8
	v_add_co_ci_u32_e32 v7, vcc_lo, v7, v9, vcc_lo
	s_delay_alu instid0(VALU_DEP_2) | instskip(SKIP_1) | instid1(VALU_DEP_3)
	v_mul_hi_u32 v8, s2, v2
	v_mul_lo_u32 v10, s22, v2
	v_mul_lo_u32 v9, s2, v7
	s_delay_alu instid0(VALU_DEP_1) | instskip(SKIP_1) | instid1(VALU_DEP_2)
	v_add_nc_u32_e32 v8, v8, v9
	v_mul_lo_u32 v9, s2, v2
	v_add_nc_u32_e32 v8, v8, v10
	s_delay_alu instid0(VALU_DEP_2) | instskip(NEXT) | instid1(VALU_DEP_2)
	v_mul_hi_u32 v10, v2, v9
	v_mul_lo_u32 v11, v2, v8
	v_mul_hi_u32 v12, v2, v8
	v_mul_hi_u32 v13, v7, v9
	v_mul_lo_u32 v9, v7, v9
	v_mul_hi_u32 v14, v7, v8
	v_mul_lo_u32 v8, v7, v8
	v_add_co_u32 v10, vcc_lo, v10, v11
	v_add_co_ci_u32_e32 v11, vcc_lo, 0, v12, vcc_lo
	s_delay_alu instid0(VALU_DEP_2) | instskip(NEXT) | instid1(VALU_DEP_2)
	v_add_co_u32 v9, vcc_lo, v10, v9
	v_add_co_ci_u32_e32 v9, vcc_lo, v11, v13, vcc_lo
	v_add_co_ci_u32_e32 v10, vcc_lo, 0, v14, vcc_lo
	s_delay_alu instid0(VALU_DEP_2) | instskip(NEXT) | instid1(VALU_DEP_2)
	v_add_co_u32 v8, vcc_lo, v9, v8
	v_add_co_ci_u32_e32 v9, vcc_lo, 0, v10, vcc_lo
	s_delay_alu instid0(VALU_DEP_2) | instskip(NEXT) | instid1(VALU_DEP_2)
	v_add_co_u32 v2, vcc_lo, v2, v8
	v_add_co_ci_u32_e32 v13, vcc_lo, v7, v9, vcc_lo
	s_delay_alu instid0(VALU_DEP_2) | instskip(SKIP_1) | instid1(VALU_DEP_3)
	v_mul_hi_u32 v14, v5, v2
	v_mad_u64_u32 v[9:10], null, v6, v2, 0
	v_mad_u64_u32 v[7:8], null, v5, v13, 0
	;; [unrolled: 1-line block ×3, first 2 shown]
	s_delay_alu instid0(VALU_DEP_2) | instskip(NEXT) | instid1(VALU_DEP_3)
	v_add_co_u32 v2, vcc_lo, v14, v7
	v_add_co_ci_u32_e32 v7, vcc_lo, 0, v8, vcc_lo
	s_delay_alu instid0(VALU_DEP_2) | instskip(NEXT) | instid1(VALU_DEP_2)
	v_add_co_u32 v2, vcc_lo, v2, v9
	v_add_co_ci_u32_e32 v2, vcc_lo, v7, v10, vcc_lo
	v_add_co_ci_u32_e32 v7, vcc_lo, 0, v12, vcc_lo
	s_delay_alu instid0(VALU_DEP_2) | instskip(NEXT) | instid1(VALU_DEP_2)
	v_add_co_u32 v2, vcc_lo, v2, v11
	v_add_co_ci_u32_e32 v9, vcc_lo, 0, v7, vcc_lo
	s_delay_alu instid0(VALU_DEP_2) | instskip(SKIP_1) | instid1(VALU_DEP_3)
	v_mul_lo_u32 v10, s21, v2
	v_mad_u64_u32 v[7:8], null, s20, v2, 0
	v_mul_lo_u32 v11, s20, v9
	s_delay_alu instid0(VALU_DEP_2) | instskip(NEXT) | instid1(VALU_DEP_2)
	v_sub_co_u32 v7, vcc_lo, v5, v7
	v_add3_u32 v8, v8, v11, v10
	s_delay_alu instid0(VALU_DEP_1) | instskip(NEXT) | instid1(VALU_DEP_1)
	v_sub_nc_u32_e32 v10, v6, v8
	v_subrev_co_ci_u32_e64 v10, s2, s21, v10, vcc_lo
	v_add_co_u32 v11, s2, v2, 2
	s_delay_alu instid0(VALU_DEP_1) | instskip(SKIP_3) | instid1(VALU_DEP_3)
	v_add_co_ci_u32_e64 v12, s2, 0, v9, s2
	v_sub_co_u32 v13, s2, v7, s20
	v_sub_co_ci_u32_e32 v8, vcc_lo, v6, v8, vcc_lo
	v_subrev_co_ci_u32_e64 v10, s2, 0, v10, s2
	v_cmp_le_u32_e32 vcc_lo, s20, v13
	s_delay_alu instid0(VALU_DEP_3) | instskip(SKIP_1) | instid1(VALU_DEP_4)
	v_cmp_eq_u32_e64 s2, s21, v8
	v_cndmask_b32_e64 v13, 0, -1, vcc_lo
	v_cmp_le_u32_e32 vcc_lo, s21, v10
	v_cndmask_b32_e64 v14, 0, -1, vcc_lo
	v_cmp_le_u32_e32 vcc_lo, s20, v7
	;; [unrolled: 2-line block ×3, first 2 shown]
	v_cndmask_b32_e64 v15, 0, -1, vcc_lo
	v_cmp_eq_u32_e32 vcc_lo, s21, v10
	s_delay_alu instid0(VALU_DEP_2) | instskip(SKIP_3) | instid1(VALU_DEP_3)
	v_cndmask_b32_e64 v7, v15, v7, s2
	v_cndmask_b32_e32 v10, v14, v13, vcc_lo
	v_add_co_u32 v13, vcc_lo, v2, 1
	v_add_co_ci_u32_e32 v14, vcc_lo, 0, v9, vcc_lo
	v_cmp_ne_u32_e32 vcc_lo, 0, v10
	s_delay_alu instid0(VALU_DEP_2) | instskip(NEXT) | instid1(VALU_DEP_4)
	v_cndmask_b32_e32 v8, v14, v12, vcc_lo
	v_cndmask_b32_e32 v10, v13, v11, vcc_lo
	v_cmp_ne_u32_e32 vcc_lo, 0, v7
	s_delay_alu instid0(VALU_DEP_2)
	v_dual_cndmask_b32 v7, v2, v10 :: v_dual_cndmask_b32 v8, v9, v8
.LBB0_4:                                ;   in Loop: Header=BB0_2 Depth=1
	s_and_not1_saveexec_b32 s2, s3
	s_cbranch_execz .LBB0_6
; %bb.5:                                ;   in Loop: Header=BB0_2 Depth=1
	v_cvt_f32_u32_e32 v2, s20
	s_sub_i32 s3, 0, s20
	s_delay_alu instid0(VALU_DEP_1) | instskip(SKIP_2) | instid1(VALU_DEP_1)
	v_rcp_iflag_f32_e32 v2, v2
	s_waitcnt_depctr 0xfff
	v_mul_f32_e32 v2, 0x4f7ffffe, v2
	v_cvt_u32_f32_e32 v2, v2
	s_delay_alu instid0(VALU_DEP_1) | instskip(NEXT) | instid1(VALU_DEP_1)
	v_mul_lo_u32 v7, s3, v2
	v_mul_hi_u32 v7, v2, v7
	s_delay_alu instid0(VALU_DEP_1) | instskip(NEXT) | instid1(VALU_DEP_1)
	v_add_nc_u32_e32 v2, v2, v7
	v_mul_hi_u32 v2, v5, v2
	s_delay_alu instid0(VALU_DEP_1) | instskip(SKIP_1) | instid1(VALU_DEP_2)
	v_mul_lo_u32 v7, v2, s20
	v_add_nc_u32_e32 v8, 1, v2
	v_sub_nc_u32_e32 v7, v5, v7
	s_delay_alu instid0(VALU_DEP_1) | instskip(SKIP_1) | instid1(VALU_DEP_2)
	v_subrev_nc_u32_e32 v9, s20, v7
	v_cmp_le_u32_e32 vcc_lo, s20, v7
	v_dual_cndmask_b32 v7, v7, v9 :: v_dual_cndmask_b32 v2, v2, v8
	s_delay_alu instid0(VALU_DEP_1) | instskip(NEXT) | instid1(VALU_DEP_2)
	v_cmp_le_u32_e32 vcc_lo, s20, v7
	v_add_nc_u32_e32 v8, 1, v2
	s_delay_alu instid0(VALU_DEP_1)
	v_dual_cndmask_b32 v7, v2, v8 :: v_dual_mov_b32 v8, v1
.LBB0_6:                                ;   in Loop: Header=BB0_2 Depth=1
	s_or_b32 exec_lo, exec_lo, s2
	s_load_b64 s[2:3], s[14:15], 0x0
	s_delay_alu instid0(VALU_DEP_1) | instskip(NEXT) | instid1(VALU_DEP_2)
	v_mul_lo_u32 v2, v8, s20
	v_mul_lo_u32 v11, v7, s21
	v_mad_u64_u32 v[9:10], null, v7, s20, 0
	s_add_u32 s18, s18, 1
	s_addc_u32 s19, s19, 0
	s_add_u32 s14, s14, 8
	s_addc_u32 s15, s15, 0
	;; [unrolled: 2-line block ×3, first 2 shown]
	s_delay_alu instid0(VALU_DEP_1) | instskip(SKIP_1) | instid1(VALU_DEP_2)
	v_add3_u32 v2, v10, v11, v2
	v_sub_co_u32 v9, vcc_lo, v5, v9
	v_sub_co_ci_u32_e32 v2, vcc_lo, v6, v2, vcc_lo
	s_waitcnt lgkmcnt(0)
	s_delay_alu instid0(VALU_DEP_2) | instskip(NEXT) | instid1(VALU_DEP_2)
	v_mul_lo_u32 v10, s3, v9
	v_mul_lo_u32 v2, s2, v2
	v_mad_u64_u32 v[5:6], null, s2, v9, v[3:4]
	v_cmp_ge_u64_e64 s2, s[18:19], s[6:7]
	s_delay_alu instid0(VALU_DEP_1) | instskip(NEXT) | instid1(VALU_DEP_2)
	s_and_b32 vcc_lo, exec_lo, s2
	v_add3_u32 v4, v10, v6, v2
	s_delay_alu instid0(VALU_DEP_3)
	v_mov_b32_e32 v3, v5
	s_cbranch_vccnz .LBB0_9
; %bb.7:                                ;   in Loop: Header=BB0_2 Depth=1
	v_dual_mov_b32 v5, v7 :: v_dual_mov_b32 v6, v8
	s_branch .LBB0_2
.LBB0_8:
	v_dual_mov_b32 v8, v6 :: v_dual_mov_b32 v7, v5
.LBB0_9:
	s_lshl_b64 s[2:3], s[6:7], 3
	v_mul_hi_u32 v5, 0x253c826, v0
	s_add_u32 s2, s12, s2
	s_addc_u32 s3, s13, s3
                                        ; implicit-def: $vgpr20
                                        ; implicit-def: $vgpr23
                                        ; implicit-def: $vgpr17
                                        ; implicit-def: $vgpr24
                                        ; implicit-def: $vgpr16
                                        ; implicit-def: $vgpr21
                                        ; implicit-def: $vgpr15
                                        ; implicit-def: $vgpr22
                                        ; implicit-def: $vgpr14
                                        ; implicit-def: $vgpr28
                                        ; implicit-def: $vgpr27
                                        ; implicit-def: $vgpr12
                                        ; implicit-def: $vgpr26
                                        ; implicit-def: $vgpr13
                                        ; implicit-def: $vgpr25
                                        ; implicit-def: $vgpr18
                                        ; implicit-def: $vgpr19
	s_load_b64 s[2:3], s[2:3], 0x0
	s_load_b64 s[0:1], s[0:1], 0x20
	s_waitcnt lgkmcnt(0)
	v_mul_lo_u32 v6, s2, v8
	v_mul_lo_u32 v9, s3, v7
	v_mad_u64_u32 v[1:2], null, s2, v7, v[3:4]
	v_mul_u32_u24_e32 v3, 0x6e, v5
	v_cmp_gt_u64_e32 vcc_lo, s[0:1], v[7:8]
	v_mov_b32_e32 v5, 0
                                        ; implicit-def: $vgpr7
                                        ; implicit-def: $vgpr4
	s_delay_alu instid0(VALU_DEP_3) | instskip(SKIP_2) | instid1(VALU_DEP_3)
	v_sub_nc_u32_e32 v10, v0, v3
	v_mov_b32_e32 v0, 0
	v_add3_u32 v2, v9, v2, v6
                                        ; implicit-def: $vgpr6
	v_cmp_gt_u32_e64 s0, 60, v10
	s_delay_alu instid0(VALU_DEP_2) | instskip(NEXT) | instid1(VALU_DEP_2)
	v_lshlrev_b64 v[8:9], 2, v[1:2]
	s_and_b32 s1, vcc_lo, s0
	s_delay_alu instid0(SALU_CYCLE_1)
	s_and_saveexec_b32 s2, s1
	s_cbranch_execz .LBB0_11
; %bb.10:
	v_add_nc_u32_e32 v7, 60, v10
	v_mad_u64_u32 v[0:1], null, s8, v10, 0
	v_add_co_u32 v34, s1, s10, v8
	s_delay_alu instid0(VALU_DEP_3)
	v_mad_u64_u32 v[2:3], null, s8, v7, 0
	v_add_co_ci_u32_e64 v35, s1, s11, v9, s1
	v_add_nc_u32_e32 v28, 0x21c, v10
	v_add_nc_u32_e32 v21, 0x168, v10
	;; [unrolled: 1-line block ×3, first 2 shown]
	v_mad_u64_u32 v[4:5], null, s9, v10, v[1:2]
	s_delay_alu instid0(VALU_DEP_1) | instskip(SKIP_1) | instid1(VALU_DEP_2)
	v_dual_mov_b32 v1, v4 :: v_dual_add_nc_u32 v14, 0x78, v10
	v_mad_u64_u32 v[11:12], null, s9, v7, v[3:4]
	v_mad_u64_u32 v[5:6], null, s8, v14, 0
	v_add_nc_u32_e32 v18, 0xb4, v10
	s_delay_alu instid0(VALU_DEP_4) | instskip(NEXT) | instid1(VALU_DEP_4)
	v_lshlrev_b64 v[0:1], 2, v[0:1]
	v_mov_b32_e32 v3, v11
	s_delay_alu instid0(VALU_DEP_3) | instskip(SKIP_1) | instid1(VALU_DEP_4)
	v_mad_u64_u32 v[12:13], null, s8, v18, 0
	v_mov_b32_e32 v4, v6
	v_add_co_u32 v0, s1, v34, v0
	s_delay_alu instid0(VALU_DEP_4) | instskip(SKIP_1) | instid1(VALU_DEP_4)
	v_lshlrev_b64 v[2:3], 2, v[2:3]
	v_add_co_ci_u32_e64 v1, s1, v35, v1, s1
	v_mad_u64_u32 v[6:7], null, s9, v14, v[4:5]
	v_dual_mov_b32 v4, v13 :: v_dual_add_nc_u32 v7, 0xf0, v10
	s_delay_alu instid0(VALU_DEP_4) | instskip(NEXT) | instid1(VALU_DEP_1)
	v_add_co_u32 v2, s1, v34, v2
	v_add_co_ci_u32_e64 v3, s1, v35, v3, s1
	s_delay_alu instid0(VALU_DEP_3) | instskip(NEXT) | instid1(VALU_DEP_4)
	v_mad_u64_u32 v[16:17], null, s9, v18, v[4:5]
	v_mad_u64_u32 v[14:15], null, s8, v7, 0
	v_add_nc_u32_e32 v20, 0x12c, v10
	v_lshlrev_b64 v[4:5], 2, v[5:6]
	s_delay_alu instid0(VALU_DEP_4) | instskip(NEXT) | instid1(VALU_DEP_3)
	v_mov_b32_e32 v13, v16
	v_mad_u64_u32 v[17:18], null, s8, v20, 0
	v_mov_b32_e32 v6, v15
	s_delay_alu instid0(VALU_DEP_4) | instskip(NEXT) | instid1(VALU_DEP_4)
	v_add_co_u32 v4, s1, v34, v4
	v_lshlrev_b64 v[11:12], 2, v[12:13]
	v_add_co_ci_u32_e64 v5, s1, v35, v5, s1
	s_delay_alu instid0(VALU_DEP_4) | instskip(SKIP_1) | instid1(VALU_DEP_4)
	v_mad_u64_u32 v[15:16], null, s9, v7, v[6:7]
	v_mov_b32_e32 v6, v18
	v_add_co_u32 v11, s1, v34, v11
	s_delay_alu instid0(VALU_DEP_1) | instskip(NEXT) | instid1(VALU_DEP_3)
	v_add_co_ci_u32_e64 v12, s1, v35, v12, s1
	v_mad_u64_u32 v[18:19], null, s9, v20, v[6:7]
	v_mad_u64_u32 v[6:7], null, s8, v21, 0
	v_lshlrev_b64 v[13:14], 2, v[14:15]
	s_delay_alu instid0(VALU_DEP_3) | instskip(NEXT) | instid1(VALU_DEP_3)
	v_lshlrev_b64 v[17:18], 2, v[17:18]
	v_mad_u64_u32 v[19:20], null, s9, v21, v[7:8]
	v_add_nc_u32_e32 v24, 0x1a4, v10
	v_mad_u64_u32 v[20:21], null, s8, v27, 0
	v_add_co_u32 v13, s1, v34, v13
	s_delay_alu instid0(VALU_DEP_1) | instskip(SKIP_2) | instid1(VALU_DEP_2)
	v_add_co_ci_u32_e64 v14, s1, v35, v14, s1
	v_mov_b32_e32 v7, v19
	v_mad_u64_u32 v[15:16], null, s8, v24, 0
	v_lshlrev_b64 v[6:7], 2, v[6:7]
	s_delay_alu instid0(VALU_DEP_2) | instskip(SKIP_2) | instid1(VALU_DEP_2)
	v_mad_u64_u32 v[22:23], null, s9, v24, v[16:17]
	v_mov_b32_e32 v16, v21
	v_mad_u64_u32 v[23:24], null, s8, v28, 0
	v_mad_u64_u32 v[25:26], null, s9, v27, v[16:17]
	v_add_nc_u32_e32 v30, 0x258, v10
	v_add_co_u32 v17, s1, v34, v17
	s_delay_alu instid0(VALU_DEP_4) | instskip(SKIP_3) | instid1(VALU_DEP_4)
	v_dual_mov_b32 v19, v24 :: v_dual_mov_b32 v16, v22
	v_add_co_ci_u32_e64 v18, s1, v35, v18, s1
	v_mov_b32_e32 v21, v25
	v_mad_u64_u32 v[26:27], null, s8, v30, 0
	v_mad_u64_u32 v[24:25], null, s9, v28, v[19:20]
	v_add_co_u32 v28, s1, v34, v6
	s_delay_alu instid0(VALU_DEP_1) | instskip(NEXT) | instid1(VALU_DEP_4)
	v_add_co_ci_u32_e64 v29, s1, v35, v7, s1
	v_mov_b32_e32 v19, v27
	v_lshlrev_b64 v[6:7], 2, v[15:16]
	s_delay_alu instid0(VALU_DEP_2) | instskip(SKIP_1) | instid1(VALU_DEP_3)
	v_mad_u64_u32 v[15:16], null, s9, v30, v[19:20]
	v_lshlrev_b64 v[19:20], 2, v[20:21]
	v_add_co_u32 v30, s1, v34, v6
	s_delay_alu instid0(VALU_DEP_1) | instskip(SKIP_3) | instid1(VALU_DEP_1)
	v_add_co_ci_u32_e64 v31, s1, v35, v7, s1
	v_lshlrev_b64 v[6:7], 2, v[23:24]
	v_mov_b32_e32 v27, v15
	v_add_co_u32 v15, s1, v34, v19
	v_add_co_ci_u32_e64 v16, s1, v35, v20, s1
	s_delay_alu instid0(VALU_DEP_3) | instskip(SKIP_1) | instid1(VALU_DEP_1)
	v_lshlrev_b64 v[19:20], 2, v[26:27]
	v_add_co_u32 v32, s1, v34, v6
	v_add_co_ci_u32_e64 v33, s1, v35, v7, s1
	s_delay_alu instid0(VALU_DEP_3) | instskip(NEXT) | instid1(VALU_DEP_1)
	v_add_co_u32 v34, s1, v34, v19
	v_add_co_ci_u32_e64 v35, s1, v35, v20, s1
	s_clause 0xa
	global_load_b32 v0, v[0:1], off
	global_load_b32 v23, v[2:3], off
	;; [unrolled: 1-line block ×11, first 2 shown]
	s_waitcnt vmcnt(10)
	v_lshrrev_b32_e32 v5, 16, v0
	s_waitcnt vmcnt(9)
	v_lshrrev_b32_e32 v20, 16, v23
	;; [unrolled: 2-line block ×11, first 2 shown]
.LBB0_11:
	s_or_b32 exec_lo, exec_lo, s2
	s_delay_alu instid0(VALU_DEP_1)
	v_sub_f16_e32 v41, v20, v4
	v_add_f16_e32 v34, v23, v28
	v_sub_f16_e32 v40, v17, v6
	v_add_f16_e32 v35, v24, v27
	v_sub_f16_e32 v39, v16, v12
	v_pk_mul_f16 v33, 0xbb47bbeb, v41 op_sel_hi:[1,0]
	v_pk_mul_f16 v45, 0xba0cb482, v41 op_sel_hi:[1,0]
	;; [unrolled: 1-line block ×4, first 2 shown]
	v_add_f16_e32 v36, v21, v26
	v_pk_fma_f16 v2, 0x36a6b08e, v34, v33 op_sel_hi:[1,0,1] neg_lo:[0,0,1] neg_hi:[0,0,1]
	v_pk_fma_f16 v3, 0xb93dbbad, v34, v45 op_sel_hi:[1,0,1] neg_lo:[0,0,1] neg_hi:[0,0,1]
	v_sub_f16_e32 v37, v15, v13
	v_pk_fma_f16 v11, 0xb93dbbad, v35, v38 op_sel_hi:[1,0,1] neg_lo:[0,0,1] neg_hi:[0,0,1]
	v_pk_mul_f16 v30, 0x34823b47, v39 op_sel_hi:[1,0]
	v_pk_add_f16 v2, v0, v2 op_sel_hi:[0,1]
	v_pk_add_f16 v3, v0, v3 op_sel_hi:[0,1]
	v_pk_fma_f16 v42, 0xb08e3abb, v35, v46 op_sel_hi:[1,0,1] neg_lo:[0,0,1] neg_hi:[0,0,1]
	v_pk_mul_f16 v44, 0xb853ba0c, v39 op_sel_hi:[1,0]
	v_add_f16_e32 v32, v22, v25
	v_sub_f16_e32 v31, v14, v18
	v_pk_add_f16 v2, v2, v11
	v_pk_fma_f16 v11, 0xbbad36a6, v36, v30 op_sel_hi:[1,0,1] neg_lo:[0,0,1] neg_hi:[0,0,1]
	v_pk_mul_f16 v29, 0x3bebb853, v37 op_sel_hi:[1,0]
	v_pk_add_f16 v3, v3, v42
	v_pk_fma_f16 v43, 0x3abbb93d, v36, v44 op_sel_hi:[1,0,1] neg_lo:[0,0,1] neg_hi:[0,0,1]
	v_pk_mul_f16 v42, 0xb4823b47, v37 op_sel_hi:[1,0]
	v_add_f16_e32 v1, v7, v19
	v_pk_add_f16 v11, v2, v11
	v_pk_fma_f16 v47, 0xb08e3abb, v32, v29 op_sel_hi:[1,0,1] neg_lo:[0,0,1] neg_hi:[0,0,1]
	v_pk_mul_f16 v2, 0x3853ba0c, v31 op_sel_hi:[1,0]
	v_pk_add_f16 v3, v3, v43
	v_pk_fma_f16 v48, 0xbbad36a6, v32, v42 op_sel_hi:[1,0,1] neg_lo:[0,0,1] neg_hi:[0,0,1]
	v_pk_mul_f16 v43, 0x3b47bbeb, v31 op_sel_hi:[1,0]
	v_pk_add_f16 v11, v11, v47
	v_pk_fma_f16 v47, 0x3abbb93d, v1, v2 op_sel_hi:[1,0,1] neg_lo:[0,0,1] neg_hi:[0,0,1]
	s_delay_alu instid0(VALU_DEP_4) | instskip(NEXT) | instid1(VALU_DEP_4)
	v_pk_add_f16 v3, v3, v48
	v_pk_fma_f16 v48, 0x36a6b08e, v1, v43 op_sel_hi:[1,0,1] neg_lo:[0,0,1] neg_hi:[0,0,1]
	s_delay_alu instid0(VALU_DEP_3) | instskip(NEXT) | instid1(VALU_DEP_2)
	v_pk_add_f16 v11, v11, v47
	v_pk_add_f16 v3, v3, v48
	s_and_saveexec_b32 s1, s0
	s_cbranch_execz .LBB0_13
; %bb.12:
	v_pk_mul_f16 v55, 0xb93dbbad, v34 op_sel_hi:[1,0]
	v_pack_b32_f16 v49, v41, v41
	v_pk_mul_f16 v64, 0xbbad36a6, v32 op_sel_hi:[1,0]
	v_mul_f16_e32 v41, 0xb853, v41
	v_pack_b32_f16 v47, v34, v34
	v_add_f16_e32 v45, v45, v55
	v_pk_mul_f16 v55, 0xb08e3abb, v35 op_sel_hi:[1,0]
	v_pk_mul_f16 v48, 0x36a6b08e, v34 op_sel_hi:[1,0]
	v_pack_b32_f16 v53, v40, v40
	v_fma_f16 v65, v34, 0x3abb, -v41
	v_add_f16_e32 v45, v0, v45
	v_add_f16_e32 v46, v46, v55
	v_pk_mul_f16 v55, 0x3abbb93d, v36 op_sel_hi:[1,0]
	v_mul_f16_e32 v40, 0xbb47, v40
	v_add_f16_e32 v42, v42, v64
	v_mul_f16_e32 v34, 0x3abb, v34
	v_add_f16_e32 v45, v45, v46
	v_add_f16_e32 v44, v44, v55
	;; [unrolled: 1-line block ×3, first 2 shown]
	v_pack_b32_f16 v51, v35, v35
	v_pk_mul_f16 v52, 0xb93dbbad, v35 op_sel_hi:[1,0]
	v_bfi_b32 v33, 0xffff, v41, v33
	v_add_f16_e32 v44, v45, v44
	v_add_f16_e32 v45, v55, v24
	v_fma_f16 v55, v35, 0x36a6, -v40
	v_mul_f16_e32 v35, 0x36a6, v35
	v_bfi_b32 v34, 0xffff, v34, v48
	v_add_f16_e32 v42, v44, v42
	v_add_f16_e32 v44, v45, v21
	v_perm_b32 v50, v0, v0, 0x5040100
	v_pack_b32_f16 v57, v39, v39
	v_mul_f16_e32 v39, 0xbbeb, v39
	v_pk_add_f16 v33, v33, v34
	v_add_f16_e32 v44, v44, v22
	v_bfi_b32 v34, 0xffff, v40, v38
	v_bfi_b32 v35, 0xffff, v35, v52
	v_pk_mul_f16 v38, 0xb93db08e, v47
	v_pack_b32_f16 v54, v36, v36
	v_pk_mul_f16 v56, 0xbbad36a6, v36 op_sel_hi:[1,0]
	v_add_f16_e32 v0, v0, v65
	v_fma_f16 v45, v36, 0xb08e, -v39
	v_mul_f16_e32 v36, 0xb08e, v36
	v_add_f16_e32 v44, v44, v7
	v_pk_add_f16 v33, v50, v33
	v_pk_add_f16 v34, v34, v35
	v_pk_fma_f16 v35, 0xba0cbbeb, v49, v38
	v_pk_mul_f16 v38, 0xb08ebbad, v51
	v_pack_b32_f16 v58, v32, v32
	v_pk_mul_f16 v59, 0xb08e3abb, v32 op_sel_hi:[1,0]
	v_pack_b32_f16 v60, v37, v37
	v_add_f16_e32 v0, v0, v55
	v_mul_f16_e32 v37, 0xba0c, v37
	v_mul_f16_e32 v41, 0xb93d, v32
	v_add_f16_e32 v44, v44, v19
	v_bfi_b32 v30, 0xffff, v39, v30
	v_bfi_b32 v36, 0xffff, v36, v56
	v_pk_add_f16 v33, v33, v34
	v_pk_add_f16 v34, v50, v35
	v_pk_fma_f16 v35, 0x3beb3482, v53, v38
	v_pk_mul_f16 v38, 0x3abb36a6, v54
	v_pack_b32_f16 v61, v1, v1
	v_pk_mul_f16 v62, 0x3abbb93d, v1 op_sel_hi:[1,0]
	v_pack_b32_f16 v63, v31, v31
	v_add_f16_e32 v0, v0, v45
	v_fma_f16 v32, v32, 0xb93d, -v37
	v_mul_f16_e32 v45, 0xbbad, v1
	v_mul_f16_e32 v31, 0xb482, v31
	v_add_f16_e32 v40, v25, v44
	v_pk_add_f16 v30, v30, v36
	v_bfi_b32 v29, 0xffff, v37, v29
	v_bfi_b32 v36, 0xffff, v41, v59
	v_pk_add_f16 v34, v34, v35
	v_pk_fma_f16 v35, 0xb8533b47, v57, v38
	v_pk_mul_f16 v37, 0xbbad3abb, v58
	v_pk_mul_f16 v46, 0x36a6b08e, v1 op_sel_hi:[1,0]
	v_pk_add_f16 v30, v33, v30
	v_pk_add_f16 v29, v29, v36
	v_bfi_b32 v2, 0xffff, v31, v2
	v_pk_add_f16 v33, v34, v35
	v_pk_fma_f16 v34, 0xb482b853, v60, v37
	v_pk_mul_f16 v35, 0x36a6b93d, v61
	v_bfi_b32 v36, 0xffff, v45, v62
	v_add_f16_e32 v37, v26, v40
	v_add_f16_e32 v43, v43, v46
	v_pk_add_f16 v29, v30, v29
	v_pk_add_f16 v30, v33, v34
	v_pk_fma_f16 v33, 0x3b47ba0c, v63, v35
	v_pk_add_f16 v2, v2, v36
	v_add_f16_e32 v34, v27, v37
	v_add_f16_e32 v35, v42, v43
	;; [unrolled: 1-line block ×3, first 2 shown]
	v_pk_add_f16 v0, v30, v33
	v_pk_add_f16 v29, v29, v2
	v_add_f16_e32 v30, v28, v34
	v_fma_f16 v31, v1, 0xbbad, -v31
	v_mad_u32_u24 v33, v10, 22, 0
	v_alignbit_b32 v2, v35, v0, 16
	v_alignbit_b32 v1, v0, v29, 16
	v_pack_b32_f16 v0, v30, v29
	v_add_f16_e32 v29, v32, v31
	ds_store_b128 v33, v[0:3]
	ds_store_b32 v33, v11 offset:16
	ds_store_b16 v33, v29 offset:20
.LBB0_13:
	s_or_b32 exec_lo, exec_lo, s1
	v_sub_f16_e32 v44, v23, v28
	v_add_f16_e32 v42, v20, v4
	v_sub_f16_e32 v43, v24, v27
	v_add_f16_e32 v35, v17, v6
	v_sub_f16_e32 v38, v21, v26
	v_pk_mul_f16 v40, 0xbb47bbeb, v44 op_sel_hi:[1,0]
	v_pk_mul_f16 v28, 0xba0cb482, v44 op_sel_hi:[1,0]
	;; [unrolled: 1-line block ×3, first 2 shown]
	v_add_f16_e32 v31, v16, v12
	v_pk_mul_f16 v41, 0x34823b47, v38 op_sel_hi:[1,0]
	v_pk_fma_f16 v0, 0x36a6b08e, v42, v40 op_sel_hi:[1,0,1]
	v_pk_mul_f16 v27, 0x3beb3853, v43 op_sel_hi:[1,0]
	v_pk_fma_f16 v1, 0xb93dbbad, v35, v39 op_sel_hi:[1,0,1]
	v_pk_fma_f16 v2, 0xb93dbbad, v42, v28 op_sel_hi:[1,0,1]
	v_sub_f16_e32 v30, v22, v25
	v_pk_add_f16 v0, v5, v0 op_sel_hi:[0,1]
	v_pk_fma_f16 v21, 0xbbad36a6, v31, v41 op_sel_hi:[1,0,1]
	v_pk_fma_f16 v22, 0xb08e3abb, v35, v27 op_sel_hi:[1,0,1]
	v_sub_f16_e32 v37, v7, v19
	v_lshl_add_u32 v19, v10, 1, 0
	v_pk_add_f16 v0, v0, v1
	v_pk_add_f16 v1, v5, v2 op_sel_hi:[0,1]
	v_pk_mul_f16 v29, 0xb853ba0c, v38 op_sel_hi:[1,0]
	s_waitcnt lgkmcnt(0)
	s_barrier
	v_pk_add_f16 v0, v0, v21
	v_pk_add_f16 v7, v1, v22
	buffer_gl0_inv
	ds_load_u16 v21, v19
	ds_load_u16 v24, v19 offset:220
	ds_load_u16 v23, v19 offset:440
	;; [unrolled: 1-line block ×5, first 2 shown]
	v_add_f16_e32 v26, v15, v13
	v_pk_mul_f16 v33, 0x3bebb853, v30 op_sel_hi:[1,0]
	v_pk_fma_f16 v34, 0x3abbb93d, v31, v29 op_sel_hi:[1,0,1]
	v_pk_mul_f16 v32, 0xb4823b47, v30 op_sel_hi:[1,0]
	v_add_f16_e32 v25, v14, v18
	v_pk_mul_f16 v36, 0x3853ba0c, v37 op_sel_hi:[1,0]
	v_pk_fma_f16 v45, 0xb08e3abb, v26, v33 op_sel_hi:[1,0,1]
	v_pk_add_f16 v7, v7, v34
	v_pk_fma_f16 v46, 0xbbad36a6, v26, v32 op_sel_hi:[1,0,1]
	v_pk_mul_f16 v34, 0x3b47bbeb, v37 op_sel_hi:[1,0]
	s_waitcnt lgkmcnt(0)
	v_pk_add_f16 v0, v0, v45
	v_pk_fma_f16 v45, 0x3abbb93d, v25, v36 op_sel_hi:[1,0,1]
	v_pk_add_f16 v7, v7, v46
	v_pk_fma_f16 v46, 0x36a6b08e, v25, v34 op_sel_hi:[1,0,1]
	s_barrier
	buffer_gl0_inv
	v_pk_add_f16 v0, v0, v45
	v_pk_add_f16 v7, v7, v46
	s_and_saveexec_b32 s1, s0
	s_cbranch_execz .LBB0_15
; %bb.14:
	v_add_f16_e32 v20, v5, v20
	v_pk_mul_f16 v46, 0x36a6b08e, v42 op_sel_hi:[1,0]
	v_mul_f16_e32 v61, 0x3abb, v42
	v_pack_b32_f16 v45, v42, v42
	v_pk_mul_f16 v49, 0xb93dbbad, v35 op_sel_hi:[1,0]
	v_add_f16_e32 v17, v20, v17
	v_pack_b32_f16 v50, v43, v43
	v_mul_f16_e32 v62, 0x36a6, v35
	v_perm_b32 v48, v5, v5, 0x5040100
	v_pack_b32_f16 v20, v35, v35
	v_add_f16_e32 v16, v17, v16
	v_pk_mul_f16 v17, 0xbbad36a6, v31 op_sel_hi:[1,0]
	v_pack_b32_f16 v52, v38, v38
	v_pk_mul_f16 v58, 0xb08e3abb, v35 op_sel_hi:[1,0]
	v_pack_b32_f16 v47, v44, v44
	v_add_f16_e32 v15, v16, v15
	v_pack_b32_f16 v51, v31, v31
	v_pk_mul_f16 v59, 0x3abbb93d, v31 op_sel_hi:[1,0]
	v_pk_mul_f16 v54, 0xb08e3abb, v26 op_sel_hi:[1,0]
	v_pack_b32_f16 v16, v30, v30
	v_add_f16_e32 v14, v15, v14
	v_pk_mul_f16 v15, 0xb93dbbad, v42 op_sel_hi:[1,0]
	v_pack_b32_f16 v53, v26, v26
	v_pk_mul_f16 v56, 0x3abbb93d, v25 op_sel_hi:[1,0]
	v_pack_b32_f16 v57, v37, v37
	v_add_f16_e32 v14, v14, v18
	v_mul_f16_e32 v18, 0xb853, v44
	v_sub_f16_e32 v15, v15, v28
	v_pk_mul_f16 v28, 0xbbebb482, v50
	v_pk_mul_f16 v60, 0xbbad36a6, v26 op_sel_hi:[1,0]
	v_add_f16_e32 v13, v13, v14
	v_fmamk_f16 v14, v42, 0x3abb, v18
	v_mul_f16_e32 v42, 0xbb47, v43
	v_bfi_b32 v43, 0xffff, v61, v46
	v_bfi_b32 v18, 0xffff, v18, v40
	v_add_f16_e32 v12, v12, v13
	v_add_f16_e32 v13, v5, v14
	v_fmamk_f16 v14, v35, 0x36a6, v42
	v_mul_f16_e32 v35, 0xbbeb, v38
	v_pk_add_f16 v18, v43, v18 neg_lo:[0,1] neg_hi:[0,1]
	v_bfi_b32 v38, 0xffff, v62, v49
	v_bfi_b32 v39, 0xffff, v42, v39
	v_mul_f16_e32 v40, 0xb08e, v31
	v_add_f16_e32 v13, v13, v14
	v_fmamk_f16 v14, v31, 0xb08e, v35
	v_pk_add_f16 v18, v48, v18
	v_pk_add_f16 v31, v38, v39 neg_lo:[0,1] neg_hi:[0,1]
	v_bfi_b32 v17, 0xffff, v40, v17
	v_bfi_b32 v35, 0xffff, v35, v41
	v_add_f16_e32 v6, v6, v12
	v_add_f16_e32 v12, v13, v14
	v_pk_add_f16 v14, v18, v31
	v_pk_mul_f16 v31, 0x3a0c3beb, v47
	v_pk_add_f16 v17, v17, v35 neg_lo:[0,1] neg_hi:[0,1]
	v_mul_f16_e32 v13, 0xb93d, v26
	v_mul_f16_e32 v18, 0xba0c, v30
	v_add_f16_e32 v5, v5, v15
	v_sub_f16_e32 v15, v58, v27
	v_pk_add_f16 v14, v14, v17
	v_pk_fma_f16 v17, 0xb93db08e, v45, v31
	v_bfi_b32 v13, 0xffff, v13, v54
	v_bfi_b32 v31, 0xffff, v18, v33
	v_pk_fma_f16 v20, 0xb08ebbad, v20, v28
	v_pk_mul_f16 v27, 0x3853bb47, v52
	v_pk_add_f16 v17, v48, v17
	v_mul_f16_e32 v30, 0xbbad, v25
	v_mul_f16_e32 v35, 0xb482, v37
	v_pk_add_f16 v13, v13, v31 neg_lo:[0,1] neg_hi:[0,1]
	v_add_f16_e32 v5, v5, v15
	v_sub_f16_e32 v15, v59, v29
	v_pk_add_f16 v17, v17, v20
	v_pk_fma_f16 v20, 0x3abb36a6, v51, v27
	v_pk_mul_f16 v16, 0x34823853, v16
	v_pack_b32_f16 v55, v25, v25
	v_pk_mul_f16 v44, 0x36a6b08e, v25 op_sel_hi:[1,0]
	v_pk_add_f16 v13, v14, v13
	v_add_f16_e32 v5, v5, v15
	v_sub_f16_e32 v14, v60, v32
	v_pk_add_f16 v15, v17, v20
	v_pk_fma_f16 v16, 0xbbad3abb, v53, v16
	v_pk_mul_f16 v17, 0xbb473a0c, v57
	v_bfi_b32 v20, 0xffff, v30, v56
	v_bfi_b32 v27, 0xffff, v35, v36
	v_add_f16_e32 v5, v5, v14
	v_pk_add_f16 v14, v15, v16
	v_pk_fma_f16 v15, 0x36a6b93d, v55, v17
	v_sub_f16_e32 v16, v44, v34
	v_pk_add_f16 v17, v20, v27 neg_lo:[0,1] neg_hi:[0,1]
	v_fmamk_f16 v18, v26, 0xb93d, v18
	v_add_f16_e32 v4, v4, v6
	v_pk_add_f16 v14, v14, v15
	v_add_f16_e32 v5, v5, v16
	v_pk_add_f16 v13, v13, v17
	v_add_f16_e32 v12, v12, v18
	v_fmamk_f16 v15, v25, 0xbbad, v35
	v_mad_u32_u24 v16, v10, 20, v19
	v_alignbit_b32 v6, v5, v14, 16
	v_alignbit_b32 v5, v14, v13, 16
	v_pack_b32_f16 v4, v4, v13
	v_add_f16_e32 v12, v12, v15
	ds_store_b128 v16, v[4:7]
	ds_store_b32 v16, v0 offset:16
	ds_store_b16 v16, v12 offset:20
.LBB0_15:
	s_or_b32 exec_lo, exec_lo, s1
	v_and_b32_e32 v4, 0xff, v10
	s_waitcnt lgkmcnt(0)
	s_barrier
	buffer_gl0_inv
	v_cmp_gt_u32_e64 s0, 0x42, v10
	v_mul_lo_u16 v4, 0x75, v4
	s_delay_alu instid0(VALU_DEP_1) | instskip(NEXT) | instid1(VALU_DEP_1)
	v_lshrrev_b16 v4, 8, v4
	v_sub_nc_u16 v5, v10, v4
	s_delay_alu instid0(VALU_DEP_1) | instskip(NEXT) | instid1(VALU_DEP_1)
	v_lshrrev_b16 v5, 1, v5
	v_and_b32_e32 v5, 0x7f, v5
	s_delay_alu instid0(VALU_DEP_1) | instskip(NEXT) | instid1(VALU_DEP_1)
	v_add_nc_u16 v4, v5, v4
	v_lshrrev_b16 v4, 3, v4
	s_delay_alu instid0(VALU_DEP_1) | instskip(SKIP_1) | instid1(VALU_DEP_2)
	v_mul_lo_u16 v5, v4, 11
	v_and_b32_e32 v4, 0xffff, v4
	v_sub_nc_u16 v5, v10, v5
	s_delay_alu instid0(VALU_DEP_2) | instskip(NEXT) | instid1(VALU_DEP_2)
	v_mul_u32_u24_e32 v4, 0x84, v4
	v_and_b32_e32 v5, 0xff, v5
	s_delay_alu instid0(VALU_DEP_1) | instskip(SKIP_1) | instid1(VALU_DEP_2)
	v_mul_u32_u24_e32 v6, 5, v5
	v_lshlrev_b32_e32 v5, 1, v5
	v_lshlrev_b32_e32 v6, 2, v6
	s_delay_alu instid0(VALU_DEP_2)
	v_add3_u32 v20, 0, v4, v5
	s_clause 0x1
	global_load_b128 v[25:28], v6, s[4:5]
	global_load_b32 v6, v6, s[4:5] offset:16
	ds_load_u16 v12, v19 offset:220
	ds_load_u16 v15, v19 offset:440
	;; [unrolled: 1-line block ×5, first 2 shown]
	ds_load_u16 v16, v19
	s_waitcnt vmcnt(0) lgkmcnt(0)
	s_barrier
	buffer_gl0_inv
	v_lshrrev_b32_e32 v4, 16, v25
	v_lshrrev_b32_e32 v5, 16, v26
	;; [unrolled: 1-line block ×5, first 2 shown]
	v_mul_f16_e32 v13, v12, v4
	v_mul_f16_e32 v4, v24, v4
	;; [unrolled: 1-line block ×9, first 2 shown]
	v_fmac_f16_e32 v13, v24, v25
	v_fma_f16 v24, v12, v25, -v4
	v_fma_f16 v25, v15, v26, -v5
	v_fmac_f16_e32 v33, v22, v27
	v_fma_f16 v22, v17, v27, -v34
	v_fma_f16 v15, v30, v6, -v32
	v_mul_f16_e32 v31, v2, v31
	v_fmac_f16_e32 v18, v2, v28
	v_fmac_f16_e32 v35, v1, v6
	;; [unrolled: 1-line block ×3, first 2 shown]
	v_add_f16_e32 v2, v22, v15
	v_fma_f16 v17, v29, v28, -v31
	v_sub_f16_e32 v28, v22, v15
	v_add_f16_e32 v6, v33, v35
	v_sub_f16_e32 v12, v33, v35
	v_fma_f16 v23, -0.5, v2, v24
	v_add_f16_e32 v4, v14, v18
	v_add_f16_e32 v2, v13, v33
	v_fmac_f16_e32 v13, -0.5, v6
	v_add_f16_e32 v1, v21, v14
	v_fmamk_f16 v27, v12, 0x3aee, v23
	v_fmac_f16_e32 v23, 0xbaee, v12
	v_sub_f16_e32 v5, v25, v17
	v_fmac_f16_e32 v21, -0.5, v4
	v_fmamk_f16 v26, v28, 0xbaee, v13
	v_fmac_f16_e32 v13, 0x3aee, v28
	v_mul_f16_e32 v12, 0xbaee, v27
	v_mul_f16_e32 v28, 0xbaee, v23
	v_add_f16_e32 v6, v1, v18
	v_add_f16_e32 v2, v2, v35
	v_fmamk_f16 v29, v5, 0xbaee, v21
	v_fmac_f16_e32 v21, 0x3aee, v5
	v_fmac_f16_e32 v12, 0.5, v26
	v_fmac_f16_e32 v28, -0.5, v13
	v_add_f16_e32 v1, v6, v2
	v_sub_f16_e32 v4, v6, v2
	s_delay_alu instid0(VALU_DEP_4) | instskip(NEXT) | instid1(VALU_DEP_4)
	v_add_f16_e32 v2, v29, v12
	v_add_f16_e32 v5, v21, v28
	v_sub_f16_e32 v12, v29, v12
	v_sub_f16_e32 v6, v21, v28
	ds_store_b16 v20, v1
	ds_store_b16 v20, v2 offset:22
	ds_store_b16 v20, v5 offset:44
	;; [unrolled: 1-line block ×5, first 2 shown]
	s_waitcnt lgkmcnt(0)
	s_barrier
	buffer_gl0_inv
	s_and_saveexec_b32 s1, s0
	s_cbranch_execz .LBB0_17
; %bb.16:
	ds_load_u16 v3, v19 offset:792
	ds_load_u16 v11, v19 offset:1056
	ds_load_u16 v1, v19
	ds_load_u16 v2, v19 offset:132
	ds_load_u16 v5, v19 offset:264
	;; [unrolled: 1-line block ×5, first 2 shown]
	s_waitcnt lgkmcnt(7)
	ds_load_u16_d16_hi v3, v19 offset:924
	s_waitcnt lgkmcnt(7)
	ds_load_u16_d16_hi v11, v19 offset:1188
.LBB0_17:
	s_or_b32 exec_lo, exec_lo, s1
	v_add_f16_e32 v21, v25, v17
	v_add_f16_e32 v25, v16, v25
	v_sub_f16_e32 v14, v14, v18
	v_add_f16_e32 v18, v24, v22
	v_mul_f16_e32 v22, 0.5, v27
	v_fmac_f16_e32 v16, -0.5, v21
	v_mul_f16_e32 v21, -0.5, v23
	v_add_f16_e32 v23, v25, v17
	v_add_f16_e32 v15, v18, v15
	v_fmac_f16_e32 v22, 0x3aee, v26
	v_fmamk_f16 v18, v14, 0x3aee, v16
	v_fmac_f16_e32 v21, 0x3aee, v13
	v_fmac_f16_e32 v16, 0xbaee, v14
	v_add_f16_e32 v13, v23, v15
	v_sub_f16_e32 v15, v23, v15
	v_add_f16_e32 v14, v18, v22
	v_sub_f16_e32 v18, v18, v22
	;; [unrolled: 2-line block ×3, first 2 shown]
	s_waitcnt lgkmcnt(0)
	s_barrier
	buffer_gl0_inv
	ds_store_b16 v20, v13
	ds_store_b16 v20, v14 offset:22
	ds_store_b16 v20, v17 offset:44
	;; [unrolled: 1-line block ×5, first 2 shown]
	s_waitcnt lgkmcnt(0)
	s_barrier
	buffer_gl0_inv
	s_and_saveexec_b32 s1, s0
	s_cbranch_execnz .LBB0_20
; %bb.18:
	s_or_b32 exec_lo, exec_lo, s1
	s_and_b32 s0, vcc_lo, s0
	s_delay_alu instid0(SALU_CYCLE_1)
	s_and_saveexec_b32 s1, s0
	s_cbranch_execnz .LBB0_21
.LBB0_19:
	s_endpgm
.LBB0_20:
	ds_load_u16 v7, v19 offset:792
	ds_load_u16 v0, v19 offset:1056
	ds_load_u16 v13, v19
	ds_load_u16 v14, v19 offset:132
	ds_load_u16 v17, v19 offset:264
	;; [unrolled: 1-line block ×5, first 2 shown]
	s_waitcnt lgkmcnt(7)
	ds_load_u16_d16_hi v7, v19 offset:924
	s_waitcnt lgkmcnt(7)
	ds_load_u16_d16_hi v0, v19 offset:1188
	s_or_b32 exec_lo, exec_lo, s1
	s_and_b32 s0, vcc_lo, s0
	s_delay_alu instid0(SALU_CYCLE_1)
	s_and_saveexec_b32 s1, s0
	s_cbranch_execz .LBB0_19
.LBB0_21:
	v_add_nc_u32_e32 v50, 0xc6, v10
	v_mul_u32_u24_e32 v19, 9, v10
	v_add_nc_u32_e32 v52, 0x14a, v10
	v_add_nc_u32_e32 v48, 0x42, v10
	v_add_co_u32 v60, vcc_lo, s10, v8
	v_mad_u64_u32 v[31:32], null, s8, v50, 0
	v_add_nc_u32_e32 v49, 0x84, v10
	v_mad_u64_u32 v[35:36], null, s8, v52, 0
	v_add_nc_u32_e32 v53, 0x18c, v10
	v_add_nc_u32_e32 v51, 0x108, v10
	s_delay_alu instid0(VALU_DEP_4)
	v_mad_u64_u32 v[29:30], null, s8, v49, 0
	v_lshlrev_b32_e32 v27, 2, v19
	s_clause 0x2
	global_load_b128 v[19:22], v27, s[4:5] offset:220
	global_load_b128 v[23:26], v27, s[4:5] offset:236
	global_load_b32 v55, v27, s[4:5] offset:252
	v_mad_u64_u32 v[27:28], null, s8, v10, 0
	v_add_co_ci_u32_e32 v61, vcc_lo, s11, v9, vcc_lo
	v_mad_u64_u32 v[8:9], null, s8, v48, 0
	v_add_nc_u32_e32 v54, 0x1ce, v10
	v_add_nc_u32_e32 v62, 0x210, v10
	v_mad_u64_u32 v[45:46], null, s9, v10, v[28:29]
	v_mov_b32_e32 v28, v32
	v_mov_b32_e32 v32, v36
	v_mad_u64_u32 v[37:38], null, s8, v53, 0
	v_dual_mov_b32 v10, v30 :: v_dual_add_nc_u32 v63, 0x252, v10
	v_mad_u64_u32 v[33:34], null, s8, v51, 0
	v_mad_u64_u32 v[39:40], null, s8, v54, 0
	s_delay_alu instid0(VALU_DEP_3) | instskip(SKIP_1) | instid1(VALU_DEP_4)
	v_mad_u64_u32 v[46:47], null, s9, v48, v[9:10]
	v_mad_u64_u32 v[47:48], null, s9, v49, v[10:11]
	v_mov_b32_e32 v30, v34
	v_mov_b32_e32 v34, v38
	v_mad_u64_u32 v[48:49], null, s9, v50, v[28:29]
	v_mov_b32_e32 v28, v45
	v_mad_u64_u32 v[41:42], null, s8, v62, 0
	;; [unrolled: 2-line block ×3, first 2 shown]
	s_delay_alu instid0(VALU_DEP_4)
	v_lshlrev_b64 v[27:28], 2, v[27:28]
	v_mad_u64_u32 v[43:44], null, s8, v63, 0
	v_mov_b32_e32 v30, v47
	v_mad_u64_u32 v[50:51], null, s9, v52, v[32:33]
	v_mov_b32_e32 v36, v40
	v_lshlrev_b64 v[8:9], 2, v[8:9]
	v_mov_b32_e32 v32, v48
	v_mad_u64_u32 v[51:52], null, s9, v53, v[34:35]
	v_mov_b32_e32 v38, v42
	v_lshlrev_b64 v[29:30], 2, v[29:30]
	v_add_co_u32 v27, vcc_lo, v60, v27
	v_mov_b32_e32 v34, v49
	v_mad_u64_u32 v[52:53], null, s9, v54, v[36:37]
	v_add_co_ci_u32_e32 v28, vcc_lo, v61, v28, vcc_lo
	v_mov_b32_e32 v40, v44
	v_lshlrev_b64 v[31:32], 2, v[31:32]
	v_add_co_u32 v8, vcc_lo, v60, v8
	v_mov_b32_e32 v36, v50
	v_mad_u64_u32 v[44:45], null, s9, v62, v[38:39]
	v_add_co_ci_u32_e32 v9, vcc_lo, v61, v9, vcc_lo
	v_lshlrev_b64 v[33:34], 2, v[33:34]
	v_add_co_u32 v29, vcc_lo, v60, v29
	v_mov_b32_e32 v38, v51
	v_mad_u64_u32 v[53:54], null, s9, v63, v[40:41]
	v_add_co_ci_u32_e32 v30, vcc_lo, v61, v30, vcc_lo
	v_lshlrev_b64 v[35:36], 2, v[35:36]
	v_add_co_u32 v31, vcc_lo, v60, v31
	v_mov_b32_e32 v40, v52
	v_add_co_ci_u32_e32 v32, vcc_lo, v61, v32, vcc_lo
	v_lshlrev_b64 v[37:38], 2, v[37:38]
	v_add_co_u32 v33, vcc_lo, v60, v33
	v_mov_b32_e32 v42, v44
	;; [unrolled: 4-line block ×3, first 2 shown]
	v_add_co_ci_u32_e32 v36, vcc_lo, v61, v36, vcc_lo
	v_lshlrev_b64 v[41:42], 2, v[41:42]
	v_add_co_u32 v37, vcc_lo, v60, v37
	v_add_co_ci_u32_e32 v38, vcc_lo, v61, v38, vcc_lo
	v_lshlrev_b64 v[43:44], 2, v[43:44]
	v_add_co_u32 v39, vcc_lo, v60, v39
	v_add_co_ci_u32_e32 v40, vcc_lo, v61, v40, vcc_lo
	v_lshrrev_b32_e32 v56, 16, v11
	s_waitcnt lgkmcnt(0)
	v_lshrrev_b32_e32 v57, 16, v0
	v_lshrrev_b32_e32 v58, 16, v3
	;; [unrolled: 1-line block ×3, first 2 shown]
	v_add_co_u32 v41, vcc_lo, v60, v41
	v_add_co_ci_u32_e32 v42, vcc_lo, v61, v42, vcc_lo
	v_add_co_u32 v43, vcc_lo, v60, v43
	v_add_co_ci_u32_e32 v44, vcc_lo, v61, v44, vcc_lo
	s_waitcnt vmcnt(2)
	v_lshrrev_b32_e32 v10, 16, v19
	v_lshrrev_b32_e32 v45, 16, v20
	;; [unrolled: 1-line block ×4, first 2 shown]
	s_waitcnt vmcnt(1)
	v_lshrrev_b32_e32 v48, 16, v23
	v_lshrrev_b32_e32 v49, 16, v24
	;; [unrolled: 1-line block ×4, first 2 shown]
	s_waitcnt vmcnt(0)
	v_lshrrev_b32_e32 v52, 16, v55
	v_mul_f16_e32 v53, v5, v45
	v_mul_f16_e32 v54, v12, v47
	;; [unrolled: 1-line block ×18, first 2 shown]
	v_fma_f16 v17, v17, v20, -v53
	v_fma_f16 v18, v18, v22, -v54
	;; [unrolled: 1-line block ×4, first 2 shown]
	v_fmac_f16_e32 v45, v5, v20
	v_fmac_f16_e32 v49, v3, v24
	;; [unrolled: 1-line block ×7, first 2 shown]
	v_fma_f16 v2, v15, v21, -v46
	v_fma_f16 v3, v57, v55, -v52
	;; [unrolled: 1-line block ×4, first 2 shown]
	v_fmac_f16_e32 v50, v11, v26
	v_fmac_f16_e32 v47, v12, v22
	v_fma_f16 v6, v14, v19, -v10
	v_sub_f16_e32 v10, v17, v18
	v_sub_f16_e32 v11, v0, v7
	v_add_f16_e32 v12, v18, v7
	v_sub_f16_e32 v16, v62, v63
	v_sub_f16_e32 v19, v64, v65
	v_add_f16_e32 v20, v63, v65
	v_add_f16_e32 v25, v4, v5
	;; [unrolled: 1-line block ×3, first 2 shown]
	v_sub_f16_e32 v21, v2, v3
	v_sub_f16_e32 v23, v2, v4
	;; [unrolled: 1-line block ×4, first 2 shown]
	v_add_f16_e32 v55, v62, v64
	v_sub_f16_e32 v56, v4, v2
	v_add_f16_e32 v2, v2, v6
	v_add_f16_e32 v10, v10, v11
	v_fma_f16 v11, -0.5, v12, v13
	v_add_f16_e32 v12, v16, v19
	v_fma_f16 v16, -0.5, v20, v66
	v_fma_f16 v20, -0.5, v25, v6
	;; [unrolled: 1-line block ×3, first 2 shown]
	v_sub_f16_e32 v14, v45, v50
	v_sub_f16_e32 v24, v3, v5
	;; [unrolled: 1-line block ×5, first 2 shown]
	v_add_f16_e32 v59, v13, v17
	v_sub_f16_e32 v60, v45, v47
	v_add_f16_e32 v67, v47, v49
	v_sub_f16_e32 v69, v47, v45
	v_add_f16_e32 v71, v45, v50
	v_add_f16_e32 v45, v1, v45
	;; [unrolled: 1-line block ×3, first 2 shown]
	v_sub_f16_e32 v22, v4, v5
	v_add_f16_e32 v52, v17, v0
	v_sub_f16_e32 v54, v65, v64
	v_sub_f16_e32 v57, v5, v3
	v_fma_f16 v25, -0.5, v55, v66
	v_fmamk_f16 v55, v26, 0xbb9c, v20
	v_fmamk_f16 v58, v46, 0x3b9c, v6
	v_fmac_f16_e32 v6, 0xbb9c, v46
	v_fmac_f16_e32 v20, 0x3b9c, v26
	v_sub_f16_e32 v15, v47, v49
	v_sub_f16_e32 v17, v17, v0
	;; [unrolled: 1-line block ×3, first 2 shown]
	v_add_f16_e32 v19, v23, v24
	v_add_f16_e32 v23, v48, v51
	;; [unrolled: 1-line block ×4, first 2 shown]
	v_fma_f16 v51, -0.5, v67, v1
	v_add_f16_e32 v45, v45, v47
	v_add_f16_e32 v47, v63, v62
	v_fma_f16 v13, -0.5, v52, v13
	v_add_f16_e32 v24, v53, v54
	v_add_f16_e32 v48, v56, v57
	v_fmamk_f16 v54, v21, 0x3b9c, v16
	v_fmamk_f16 v57, v22, 0xbb9c, v25
	v_fmac_f16_e32 v25, 0x3b9c, v22
	v_fmac_f16_e32 v16, 0xbb9c, v21
	v_fmac_f16_e32 v6, 0x38b4, v26
	v_fmac_f16_e32 v20, 0x38b4, v46
	v_fma_f16 v1, -0.5, v71, v1
	v_sub_f16_e32 v61, v50, v49
	v_fmamk_f16 v53, v14, 0xbb9c, v11
	v_fmac_f16_e32 v11, 0x3b9c, v14
	v_add_f16_e32 v7, v18, v7
	v_add_f16_e32 v2, v5, v2
	v_fmamk_f16 v5, v17, 0x3b9c, v51
	v_fmac_f16_e32 v51, 0xbb9c, v17
	v_add_f16_e32 v45, v45, v49
	v_add_f16_e32 v47, v65, v47
	v_fmac_f16_e32 v58, 0xb8b4, v26
	v_fmac_f16_e32 v55, 0xb8b4, v46
	v_fmamk_f16 v56, v15, 0x3b9c, v13
	v_fmac_f16_e32 v13, 0xbb9c, v15
	v_fmac_f16_e32 v54, 0x38b4, v22
	;; [unrolled: 1-line block ×6, first 2 shown]
	v_sub_f16_e32 v70, v49, v50
	v_fmamk_f16 v18, v68, 0xbb9c, v1
	v_fmac_f16_e32 v1, 0x3b9c, v68
	v_add_f16_e32 v4, v60, v61
	v_fmac_f16_e32 v53, 0xb8b4, v15
	v_fmac_f16_e32 v57, 0x38b4, v21
	;; [unrolled: 1-line block ×3, first 2 shown]
	v_add_f16_e32 v0, v0, v7
	v_add_f16_e32 v2, v3, v2
	v_fmac_f16_e32 v5, 0x38b4, v68
	v_fmac_f16_e32 v51, 0xb8b4, v68
	v_add_f16_e32 v3, v50, v45
	v_add_f16_e32 v7, v64, v47
	v_fmac_f16_e32 v58, 0x34f2, v48
	v_fmac_f16_e32 v55, 0x34f2, v19
	;; [unrolled: 1-line block ×7, first 2 shown]
	v_mul_f16_e32 v12, 0x34f2, v6
	v_mul_f16_e32 v14, 0x3a79, v20
	;; [unrolled: 1-line block ×3, first 2 shown]
	v_add_f16_e32 v52, v69, v70
	v_fmac_f16_e32 v1, 0xb8b4, v17
	v_mul_f16_e32 v6, 0xbb9c, v6
	v_fmac_f16_e32 v18, 0x38b4, v17
	v_fmac_f16_e32 v53, 0x34f2, v10
	;; [unrolled: 1-line block ×4, first 2 shown]
	v_sub_f16_e32 v10, v0, v2
	v_fmac_f16_e32 v5, 0x34f2, v4
	v_fmac_f16_e32 v51, 0x34f2, v4
	v_sub_f16_e32 v4, v3, v7
	v_add_f16_e32 v0, v0, v2
	v_add_f16_e32 v2, v3, v7
	v_mul_f16_e32 v7, 0xb4f2, v58
	v_mul_f16_e32 v17, 0xbb9c, v58
	;; [unrolled: 1-line block ×4, first 2 shown]
	v_fmac_f16_e32 v13, 0x34f2, v23
	v_fmac_f16_e32 v12, 0x3b9c, v25
	;; [unrolled: 1-line block ×10, first 2 shown]
	v_pack_b32_f16 v0, v2, v0
	v_fmac_f16_e32 v3, 0x38b4, v54
	v_fmac_f16_e32 v15, 0xba79, v54
	v_pack_b32_f16 v2, v4, v10
	v_sub_f16_e32 v10, v13, v12
	v_sub_f16_e32 v16, v11, v14
	v_add_f16_e32 v12, v13, v12
	v_add_f16_e32 v11, v11, v14
	;; [unrolled: 1-line block ×3, first 2 shown]
	v_sub_f16_e32 v22, v1, v6
	v_add_f16_e32 v1, v1, v6
	v_sub_f16_e32 v4, v56, v7
	v_add_f16_e32 v7, v56, v7
	v_add_f16_e32 v6, v18, v17
	global_store_b32 v[27:28], v0, off
	v_sub_f16_e32 v0, v53, v3
	v_sub_f16_e32 v20, v5, v15
	v_add_f16_e32 v3, v53, v3
	v_add_f16_e32 v5, v5, v15
	v_sub_f16_e32 v21, v18, v17
	v_sub_f16_e32 v14, v51, v19
	v_pack_b32_f16 v11, v13, v11
	v_pack_b32_f16 v1, v1, v12
	;; [unrolled: 1-line block ×8, first 2 shown]
	s_clause 0x8
	global_store_b32 v[8:9], v11, off
	global_store_b32 v[29:30], v1, off
	;; [unrolled: 1-line block ×9, first 2 shown]
	s_nop 0
	s_sendmsg sendmsg(MSG_DEALLOC_VGPRS)
	s_endpgm
	.section	.rodata,"a",@progbits
	.p2align	6, 0x0
	.amdhsa_kernel fft_rtc_back_len660_factors_11_6_10_wgs_110_tpt_110_halfLds_half_ip_CI_sbrr_dirReg
		.amdhsa_group_segment_fixed_size 0
		.amdhsa_private_segment_fixed_size 0
		.amdhsa_kernarg_size 88
		.amdhsa_user_sgpr_count 15
		.amdhsa_user_sgpr_dispatch_ptr 0
		.amdhsa_user_sgpr_queue_ptr 0
		.amdhsa_user_sgpr_kernarg_segment_ptr 1
		.amdhsa_user_sgpr_dispatch_id 0
		.amdhsa_user_sgpr_private_segment_size 0
		.amdhsa_wavefront_size32 1
		.amdhsa_uses_dynamic_stack 0
		.amdhsa_enable_private_segment 0
		.amdhsa_system_sgpr_workgroup_id_x 1
		.amdhsa_system_sgpr_workgroup_id_y 0
		.amdhsa_system_sgpr_workgroup_id_z 0
		.amdhsa_system_sgpr_workgroup_info 0
		.amdhsa_system_vgpr_workitem_id 0
		.amdhsa_next_free_vgpr 72
		.amdhsa_next_free_sgpr 23
		.amdhsa_reserve_vcc 1
		.amdhsa_float_round_mode_32 0
		.amdhsa_float_round_mode_16_64 0
		.amdhsa_float_denorm_mode_32 3
		.amdhsa_float_denorm_mode_16_64 3
		.amdhsa_dx10_clamp 1
		.amdhsa_ieee_mode 1
		.amdhsa_fp16_overflow 0
		.amdhsa_workgroup_processor_mode 1
		.amdhsa_memory_ordered 1
		.amdhsa_forward_progress 0
		.amdhsa_shared_vgpr_count 0
		.amdhsa_exception_fp_ieee_invalid_op 0
		.amdhsa_exception_fp_denorm_src 0
		.amdhsa_exception_fp_ieee_div_zero 0
		.amdhsa_exception_fp_ieee_overflow 0
		.amdhsa_exception_fp_ieee_underflow 0
		.amdhsa_exception_fp_ieee_inexact 0
		.amdhsa_exception_int_div_zero 0
	.end_amdhsa_kernel
	.text
.Lfunc_end0:
	.size	fft_rtc_back_len660_factors_11_6_10_wgs_110_tpt_110_halfLds_half_ip_CI_sbrr_dirReg, .Lfunc_end0-fft_rtc_back_len660_factors_11_6_10_wgs_110_tpt_110_halfLds_half_ip_CI_sbrr_dirReg
                                        ; -- End function
	.section	.AMDGPU.csdata,"",@progbits
; Kernel info:
; codeLenInByte = 7668
; NumSgprs: 25
; NumVgprs: 72
; ScratchSize: 0
; MemoryBound: 0
; FloatMode: 240
; IeeeMode: 1
; LDSByteSize: 0 bytes/workgroup (compile time only)
; SGPRBlocks: 3
; VGPRBlocks: 8
; NumSGPRsForWavesPerEU: 25
; NumVGPRsForWavesPerEU: 72
; Occupancy: 16
; WaveLimiterHint : 1
; COMPUTE_PGM_RSRC2:SCRATCH_EN: 0
; COMPUTE_PGM_RSRC2:USER_SGPR: 15
; COMPUTE_PGM_RSRC2:TRAP_HANDLER: 0
; COMPUTE_PGM_RSRC2:TGID_X_EN: 1
; COMPUTE_PGM_RSRC2:TGID_Y_EN: 0
; COMPUTE_PGM_RSRC2:TGID_Z_EN: 0
; COMPUTE_PGM_RSRC2:TIDIG_COMP_CNT: 0
	.text
	.p2alignl 7, 3214868480
	.fill 96, 4, 3214868480
	.type	__hip_cuid_1761a369ffc135b1,@object ; @__hip_cuid_1761a369ffc135b1
	.section	.bss,"aw",@nobits
	.globl	__hip_cuid_1761a369ffc135b1
__hip_cuid_1761a369ffc135b1:
	.byte	0                               ; 0x0
	.size	__hip_cuid_1761a369ffc135b1, 1

	.ident	"AMD clang version 19.0.0git (https://github.com/RadeonOpenCompute/llvm-project roc-6.4.0 25133 c7fe45cf4b819c5991fe208aaa96edf142730f1d)"
	.section	".note.GNU-stack","",@progbits
	.addrsig
	.addrsig_sym __hip_cuid_1761a369ffc135b1
	.amdgpu_metadata
---
amdhsa.kernels:
  - .args:
      - .actual_access:  read_only
        .address_space:  global
        .offset:         0
        .size:           8
        .value_kind:     global_buffer
      - .offset:         8
        .size:           8
        .value_kind:     by_value
      - .actual_access:  read_only
        .address_space:  global
        .offset:         16
        .size:           8
        .value_kind:     global_buffer
      - .actual_access:  read_only
        .address_space:  global
        .offset:         24
        .size:           8
        .value_kind:     global_buffer
      - .offset:         32
        .size:           8
        .value_kind:     by_value
      - .actual_access:  read_only
        .address_space:  global
        .offset:         40
        .size:           8
        .value_kind:     global_buffer
      - .actual_access:  read_only
        .address_space:  global
        .offset:         48
        .size:           8
        .value_kind:     global_buffer
      - .offset:         56
        .size:           4
        .value_kind:     by_value
      - .actual_access:  read_only
        .address_space:  global
        .offset:         64
        .size:           8
        .value_kind:     global_buffer
      - .actual_access:  read_only
        .address_space:  global
        .offset:         72
        .size:           8
        .value_kind:     global_buffer
      - .address_space:  global
        .offset:         80
        .size:           8
        .value_kind:     global_buffer
    .group_segment_fixed_size: 0
    .kernarg_segment_align: 8
    .kernarg_segment_size: 88
    .language:       OpenCL C
    .language_version:
      - 2
      - 0
    .max_flat_workgroup_size: 110
    .name:           fft_rtc_back_len660_factors_11_6_10_wgs_110_tpt_110_halfLds_half_ip_CI_sbrr_dirReg
    .private_segment_fixed_size: 0
    .sgpr_count:     25
    .sgpr_spill_count: 0
    .symbol:         fft_rtc_back_len660_factors_11_6_10_wgs_110_tpt_110_halfLds_half_ip_CI_sbrr_dirReg.kd
    .uniform_work_group_size: 1
    .uses_dynamic_stack: false
    .vgpr_count:     72
    .vgpr_spill_count: 0
    .wavefront_size: 32
    .workgroup_processor_mode: 1
amdhsa.target:   amdgcn-amd-amdhsa--gfx1100
amdhsa.version:
  - 1
  - 2
...

	.end_amdgpu_metadata
